;; amdgpu-corpus repo=ROCm/hip-tests kind=compiled arch=gfx1030 opt=O3
	.amdgcn_target "amdgcn-amd-amdhsa--gfx1030"
	.amdhsa_code_object_version 6
	.text
	.protected	_Z10reduce_c64PxS_PfS0_ ; -- Begin function _Z10reduce_c64PxS_PfS0_
	.globl	_Z10reduce_c64PxS_PfS0_
	.p2align	8
	.type	_Z10reduce_c64PxS_PfS0_,@function
_Z10reduce_c64PxS_PfS0_:                ; @_Z10reduce_c64PxS_PfS0_
; %bb.0:
	s_load_dwordx8 s[0:7], s[4:5], 0x0
	v_cmp_eq_u32_e32 vcc_lo, 0, v0
	s_and_saveexec_b32 s8, vcc_lo
	s_cbranch_execz .LBB0_2
; %bb.1:
	s_memtime s[10:11]
	v_mov_b32_e32 v3, 0
	s_waitcnt lgkmcnt(0)
	v_mov_b32_e32 v1, s10
	v_mov_b32_e32 v2, s11
	global_store_dwordx2 v3, v[1:2], s[0:1]
.LBB0_2:
	s_or_b32 exec_lo, exec_lo, s8
	v_lshlrev_b32_e32 v0, 2, v0
	s_waitcnt lgkmcnt(0)
	s_waitcnt_vscnt null, 0x0
	buffer_gl1_inv
	buffer_gl0_inv
	v_mbcnt_lo_u32_b32 v1, -1, 0
	global_load_dword v0, v0, s[4:5]
	s_waitcnt vmcnt(0)
	buffer_gl1_inv
	buffer_gl0_inv
	v_lshl_or_b32 v2, v1, 2, 64
	v_cmp_gt_u32_e64 s0, 24, v1
	v_cndmask_b32_e64 v3, 0, 8, s0
	v_cmp_gt_u32_e64 s0, 28, v1
	v_add_lshl_u32 v3, v3, v1, 2
	ds_bpermute_b32 v2, v2, v0
	s_waitcnt lgkmcnt(0)
	v_add_f32_e32 v0, v0, v2
	ds_bpermute_b32 v2, v3, v0
	v_cndmask_b32_e64 v3, 0, 4, s0
	v_cmp_gt_u32_e64 s0, 30, v1
	v_add_lshl_u32 v3, v3, v1, 2
	s_waitcnt lgkmcnt(0)
	v_add_f32_e32 v0, v0, v2
	ds_bpermute_b32 v2, v3, v0
	v_cndmask_b32_e64 v3, 0, 2, s0
	v_cmp_ne_u32_e64 s0, 31, v1
	v_add_lshl_u32 v3, v3, v1, 2
	v_add_co_ci_u32_e64 v1, null, 0, v1, s0
	v_lshlrev_b32_e32 v1, 2, v1
	s_waitcnt lgkmcnt(0)
	v_add_f32_e32 v0, v0, v2
	ds_bpermute_b32 v2, v3, v0
	s_waitcnt lgkmcnt(0)
	v_add_f32_e32 v0, v0, v2
	ds_bpermute_b32 v1, v1, v0
	s_and_saveexec_b32 s0, vcc_lo
	s_cbranch_execz .LBB0_4
; %bb.3:
	v_mov_b32_e32 v2, 0
	s_waitcnt lgkmcnt(0)
	v_add_f32_e32 v0, v0, v1
	global_store_dword v2, v0, s[6:7]
	s_memtime s[0:1]
	s_waitcnt lgkmcnt(0)
	v_mov_b32_e32 v0, s0
	v_mov_b32_e32 v1, s1
	global_store_dwordx2 v2, v[0:1], s[2:3]
.LBB0_4:
	s_endpgm
	.section	.rodata,"a",@progbits
	.p2align	6, 0x0
	.amdhsa_kernel _Z10reduce_c64PxS_PfS0_
		.amdhsa_group_segment_fixed_size 0
		.amdhsa_private_segment_fixed_size 0
		.amdhsa_kernarg_size 32
		.amdhsa_user_sgpr_count 6
		.amdhsa_user_sgpr_private_segment_buffer 1
		.amdhsa_user_sgpr_dispatch_ptr 0
		.amdhsa_user_sgpr_queue_ptr 0
		.amdhsa_user_sgpr_kernarg_segment_ptr 1
		.amdhsa_user_sgpr_dispatch_id 0
		.amdhsa_user_sgpr_flat_scratch_init 0
		.amdhsa_user_sgpr_private_segment_size 0
		.amdhsa_wavefront_size32 1
		.amdhsa_uses_dynamic_stack 0
		.amdhsa_system_sgpr_private_segment_wavefront_offset 0
		.amdhsa_system_sgpr_workgroup_id_x 1
		.amdhsa_system_sgpr_workgroup_id_y 0
		.amdhsa_system_sgpr_workgroup_id_z 0
		.amdhsa_system_sgpr_workgroup_info 0
		.amdhsa_system_vgpr_workitem_id 0
		.amdhsa_next_free_vgpr 4
		.amdhsa_next_free_sgpr 12
		.amdhsa_reserve_vcc 1
		.amdhsa_reserve_flat_scratch 0
		.amdhsa_float_round_mode_32 0
		.amdhsa_float_round_mode_16_64 0
		.amdhsa_float_denorm_mode_32 3
		.amdhsa_float_denorm_mode_16_64 3
		.amdhsa_dx10_clamp 1
		.amdhsa_ieee_mode 1
		.amdhsa_fp16_overflow 0
		.amdhsa_workgroup_processor_mode 1
		.amdhsa_memory_ordered 1
		.amdhsa_forward_progress 1
		.amdhsa_shared_vgpr_count 0
		.amdhsa_exception_fp_ieee_invalid_op 0
		.amdhsa_exception_fp_denorm_src 0
		.amdhsa_exception_fp_ieee_div_zero 0
		.amdhsa_exception_fp_ieee_overflow 0
		.amdhsa_exception_fp_ieee_underflow 0
		.amdhsa_exception_fp_ieee_inexact 0
		.amdhsa_exception_int_div_zero 0
	.end_amdhsa_kernel
	.text
.Lfunc_end0:
	.size	_Z10reduce_c64PxS_PfS0_, .Lfunc_end0-_Z10reduce_c64PxS_PfS0_
                                        ; -- End function
	.set _Z10reduce_c64PxS_PfS0_.num_vgpr, 4
	.set _Z10reduce_c64PxS_PfS0_.num_agpr, 0
	.set _Z10reduce_c64PxS_PfS0_.numbered_sgpr, 12
	.set _Z10reduce_c64PxS_PfS0_.num_named_barrier, 0
	.set _Z10reduce_c64PxS_PfS0_.private_seg_size, 0
	.set _Z10reduce_c64PxS_PfS0_.uses_vcc, 1
	.set _Z10reduce_c64PxS_PfS0_.uses_flat_scratch, 0
	.set _Z10reduce_c64PxS_PfS0_.has_dyn_sized_stack, 0
	.set _Z10reduce_c64PxS_PfS0_.has_recursion, 0
	.set _Z10reduce_c64PxS_PfS0_.has_indirect_call, 0
	.section	.AMDGPU.csdata,"",@progbits
; Kernel info:
; codeLenInByte = 352
; TotalNumSgprs: 14
; NumVgprs: 4
; ScratchSize: 0
; MemoryBound: 0
; FloatMode: 240
; IeeeMode: 1
; LDSByteSize: 0 bytes/workgroup (compile time only)
; SGPRBlocks: 0
; VGPRBlocks: 0
; NumSGPRsForWavesPerEU: 14
; NumVGPRsForWavesPerEU: 4
; Occupancy: 16
; WaveLimiterHint : 0
; COMPUTE_PGM_RSRC2:SCRATCH_EN: 0
; COMPUTE_PGM_RSRC2:USER_SGPR: 6
; COMPUTE_PGM_RSRC2:TRAP_HANDLER: 0
; COMPUTE_PGM_RSRC2:TGID_X_EN: 1
; COMPUTE_PGM_RSRC2:TGID_Y_EN: 0
; COMPUTE_PGM_RSRC2:TGID_Z_EN: 0
; COMPUTE_PGM_RSRC2:TIDIG_COMP_CNT: 0
	.text
	.protected	_Z8reduce_cPxS_PfS0_    ; -- Begin function _Z8reduce_cPxS_PfS0_
	.globl	_Z8reduce_cPxS_PfS0_
	.p2align	8
	.type	_Z8reduce_cPxS_PfS0_,@function
_Z8reduce_cPxS_PfS0_:                   ; @_Z8reduce_cPxS_PfS0_
; %bb.0:
	s_load_dwordx8 s[0:7], s[4:5], 0x0
	v_cmp_eq_u32_e32 vcc_lo, 0, v0
	s_and_saveexec_b32 s8, vcc_lo
	s_cbranch_execz .LBB1_2
; %bb.1:
	s_memtime s[10:11]
	v_mov_b32_e32 v3, 0
	s_waitcnt lgkmcnt(0)
	v_mov_b32_e32 v1, s10
	v_mov_b32_e32 v2, s11
	global_store_dwordx2 v3, v[1:2], s[0:1]
.LBB1_2:
	s_or_b32 exec_lo, exec_lo, s8
	v_lshlrev_b32_e32 v0, 2, v0
	s_waitcnt lgkmcnt(0)
	s_waitcnt_vscnt null, 0x0
	buffer_gl1_inv
	buffer_gl0_inv
	v_mbcnt_lo_u32_b32 v1, -1, 0
	global_load_dword v0, v0, s[4:5]
	s_waitcnt vmcnt(0)
	buffer_gl1_inv
	buffer_gl0_inv
	v_lshl_or_b32 v2, v1, 2, 64
	v_cmp_gt_u32_e64 s0, 24, v1
	v_cndmask_b32_e64 v3, 0, 8, s0
	v_cmp_gt_u32_e64 s0, 28, v1
	v_add_lshl_u32 v3, v3, v1, 2
	ds_bpermute_b32 v2, v2, v0
	s_waitcnt lgkmcnt(0)
	v_add_f32_e32 v0, v0, v2
	ds_bpermute_b32 v2, v3, v0
	v_cndmask_b32_e64 v3, 0, 4, s0
	v_cmp_gt_u32_e64 s0, 30, v1
	v_add_lshl_u32 v3, v3, v1, 2
	s_waitcnt lgkmcnt(0)
	v_add_f32_e32 v0, v0, v2
	ds_bpermute_b32 v2, v3, v0
	v_cndmask_b32_e64 v3, 0, 2, s0
	v_cmp_ne_u32_e64 s0, 31, v1
	v_add_lshl_u32 v3, v3, v1, 2
	v_add_co_ci_u32_e64 v1, null, 0, v1, s0
	v_lshlrev_b32_e32 v1, 2, v1
	s_waitcnt lgkmcnt(0)
	v_add_f32_e32 v0, v0, v2
	ds_bpermute_b32 v2, v3, v0
	s_waitcnt lgkmcnt(0)
	v_add_f32_e32 v0, v0, v2
	ds_bpermute_b32 v1, v1, v0
	s_and_saveexec_b32 s0, vcc_lo
	s_cbranch_execz .LBB1_4
; %bb.3:
	v_mov_b32_e32 v2, 0
	s_waitcnt lgkmcnt(0)
	v_add_f32_e32 v0, v0, v1
	global_store_dword v2, v0, s[6:7]
	s_memtime s[0:1]
	s_waitcnt lgkmcnt(0)
	v_mov_b32_e32 v0, s0
	v_mov_b32_e32 v1, s1
	global_store_dwordx2 v2, v[0:1], s[2:3]
.LBB1_4:
	s_endpgm
	.section	.rodata,"a",@progbits
	.p2align	6, 0x0
	.amdhsa_kernel _Z8reduce_cPxS_PfS0_
		.amdhsa_group_segment_fixed_size 0
		.amdhsa_private_segment_fixed_size 0
		.amdhsa_kernarg_size 32
		.amdhsa_user_sgpr_count 6
		.amdhsa_user_sgpr_private_segment_buffer 1
		.amdhsa_user_sgpr_dispatch_ptr 0
		.amdhsa_user_sgpr_queue_ptr 0
		.amdhsa_user_sgpr_kernarg_segment_ptr 1
		.amdhsa_user_sgpr_dispatch_id 0
		.amdhsa_user_sgpr_flat_scratch_init 0
		.amdhsa_user_sgpr_private_segment_size 0
		.amdhsa_wavefront_size32 1
		.amdhsa_uses_dynamic_stack 0
		.amdhsa_system_sgpr_private_segment_wavefront_offset 0
		.amdhsa_system_sgpr_workgroup_id_x 1
		.amdhsa_system_sgpr_workgroup_id_y 0
		.amdhsa_system_sgpr_workgroup_id_z 0
		.amdhsa_system_sgpr_workgroup_info 0
		.amdhsa_system_vgpr_workitem_id 0
		.amdhsa_next_free_vgpr 4
		.amdhsa_next_free_sgpr 12
		.amdhsa_reserve_vcc 1
		.amdhsa_reserve_flat_scratch 0
		.amdhsa_float_round_mode_32 0
		.amdhsa_float_round_mode_16_64 0
		.amdhsa_float_denorm_mode_32 3
		.amdhsa_float_denorm_mode_16_64 3
		.amdhsa_dx10_clamp 1
		.amdhsa_ieee_mode 1
		.amdhsa_fp16_overflow 0
		.amdhsa_workgroup_processor_mode 1
		.amdhsa_memory_ordered 1
		.amdhsa_forward_progress 1
		.amdhsa_shared_vgpr_count 0
		.amdhsa_exception_fp_ieee_invalid_op 0
		.amdhsa_exception_fp_denorm_src 0
		.amdhsa_exception_fp_ieee_div_zero 0
		.amdhsa_exception_fp_ieee_overflow 0
		.amdhsa_exception_fp_ieee_underflow 0
		.amdhsa_exception_fp_ieee_inexact 0
		.amdhsa_exception_int_div_zero 0
	.end_amdhsa_kernel
	.text
.Lfunc_end1:
	.size	_Z8reduce_cPxS_PfS0_, .Lfunc_end1-_Z8reduce_cPxS_PfS0_
                                        ; -- End function
	.set _Z8reduce_cPxS_PfS0_.num_vgpr, 4
	.set _Z8reduce_cPxS_PfS0_.num_agpr, 0
	.set _Z8reduce_cPxS_PfS0_.numbered_sgpr, 12
	.set _Z8reduce_cPxS_PfS0_.num_named_barrier, 0
	.set _Z8reduce_cPxS_PfS0_.private_seg_size, 0
	.set _Z8reduce_cPxS_PfS0_.uses_vcc, 1
	.set _Z8reduce_cPxS_PfS0_.uses_flat_scratch, 0
	.set _Z8reduce_cPxS_PfS0_.has_dyn_sized_stack, 0
	.set _Z8reduce_cPxS_PfS0_.has_recursion, 0
	.set _Z8reduce_cPxS_PfS0_.has_indirect_call, 0
	.section	.AMDGPU.csdata,"",@progbits
; Kernel info:
; codeLenInByte = 352
; TotalNumSgprs: 14
; NumVgprs: 4
; ScratchSize: 0
; MemoryBound: 0
; FloatMode: 240
; IeeeMode: 1
; LDSByteSize: 0 bytes/workgroup (compile time only)
; SGPRBlocks: 0
; VGPRBlocks: 0
; NumSGPRsForWavesPerEU: 14
; NumVGPRsForWavesPerEU: 4
; Occupancy: 16
; WaveLimiterHint : 0
; COMPUTE_PGM_RSRC2:SCRATCH_EN: 0
; COMPUTE_PGM_RSRC2:USER_SGPR: 6
; COMPUTE_PGM_RSRC2:TRAP_HANDLER: 0
; COMPUTE_PGM_RSRC2:TGID_X_EN: 1
; COMPUTE_PGM_RSRC2:TGID_Y_EN: 0
; COMPUTE_PGM_RSRC2:TGID_Z_EN: 0
; COMPUTE_PGM_RSRC2:TIDIG_COMP_CNT: 0
	.text
	.protected	_Z11reduce_wc64PxS_PfS0_ ; -- Begin function _Z11reduce_wc64PxS_PfS0_
	.globl	_Z11reduce_wc64PxS_PfS0_
	.p2align	8
	.type	_Z11reduce_wc64PxS_PfS0_,@function
_Z11reduce_wc64PxS_PfS0_:               ; @_Z11reduce_wc64PxS_PfS0_
; %bb.0:
	s_load_dwordx8 s[0:7], s[4:5], 0x0
	v_cmp_eq_u32_e32 vcc_lo, 0, v0
	s_and_saveexec_b32 s8, vcc_lo
	s_cbranch_execz .LBB2_2
; %bb.1:
	s_memrealtime s[10:11]
	v_mov_b32_e32 v3, 0
	s_waitcnt lgkmcnt(0)
	v_mov_b32_e32 v1, s10
	v_mov_b32_e32 v2, s11
	global_store_dwordx2 v3, v[1:2], s[0:1]
.LBB2_2:
	s_or_b32 exec_lo, exec_lo, s8
	v_lshlrev_b32_e32 v0, 2, v0
	s_waitcnt lgkmcnt(0)
	s_waitcnt_vscnt null, 0x0
	buffer_gl1_inv
	buffer_gl0_inv
	v_mbcnt_lo_u32_b32 v1, -1, 0
	global_load_dword v0, v0, s[4:5]
	s_waitcnt vmcnt(0)
	buffer_gl1_inv
	buffer_gl0_inv
	v_lshl_or_b32 v2, v1, 2, 64
	v_cmp_gt_u32_e64 s0, 24, v1
	v_cndmask_b32_e64 v3, 0, 8, s0
	v_cmp_gt_u32_e64 s0, 28, v1
	v_add_lshl_u32 v3, v3, v1, 2
	ds_bpermute_b32 v2, v2, v0
	s_waitcnt lgkmcnt(0)
	v_add_f32_e32 v0, v0, v2
	ds_bpermute_b32 v2, v3, v0
	v_cndmask_b32_e64 v3, 0, 4, s0
	v_cmp_gt_u32_e64 s0, 30, v1
	v_add_lshl_u32 v3, v3, v1, 2
	s_waitcnt lgkmcnt(0)
	v_add_f32_e32 v0, v0, v2
	ds_bpermute_b32 v2, v3, v0
	v_cndmask_b32_e64 v3, 0, 2, s0
	v_cmp_ne_u32_e64 s0, 31, v1
	v_add_lshl_u32 v3, v3, v1, 2
	v_add_co_ci_u32_e64 v1, null, 0, v1, s0
	v_lshlrev_b32_e32 v1, 2, v1
	s_waitcnt lgkmcnt(0)
	v_add_f32_e32 v0, v0, v2
	ds_bpermute_b32 v2, v3, v0
	s_waitcnt lgkmcnt(0)
	v_add_f32_e32 v0, v0, v2
	ds_bpermute_b32 v1, v1, v0
	s_and_saveexec_b32 s0, vcc_lo
	s_cbranch_execz .LBB2_4
; %bb.3:
	v_mov_b32_e32 v2, 0
	s_waitcnt lgkmcnt(0)
	v_add_f32_e32 v0, v0, v1
	global_store_dword v2, v0, s[6:7]
	s_memrealtime s[0:1]
	s_waitcnt lgkmcnt(0)
	v_mov_b32_e32 v0, s0
	v_mov_b32_e32 v1, s1
	global_store_dwordx2 v2, v[0:1], s[2:3]
.LBB2_4:
	s_endpgm
	.section	.rodata,"a",@progbits
	.p2align	6, 0x0
	.amdhsa_kernel _Z11reduce_wc64PxS_PfS0_
		.amdhsa_group_segment_fixed_size 0
		.amdhsa_private_segment_fixed_size 0
		.amdhsa_kernarg_size 32
		.amdhsa_user_sgpr_count 6
		.amdhsa_user_sgpr_private_segment_buffer 1
		.amdhsa_user_sgpr_dispatch_ptr 0
		.amdhsa_user_sgpr_queue_ptr 0
		.amdhsa_user_sgpr_kernarg_segment_ptr 1
		.amdhsa_user_sgpr_dispatch_id 0
		.amdhsa_user_sgpr_flat_scratch_init 0
		.amdhsa_user_sgpr_private_segment_size 0
		.amdhsa_wavefront_size32 1
		.amdhsa_uses_dynamic_stack 0
		.amdhsa_system_sgpr_private_segment_wavefront_offset 0
		.amdhsa_system_sgpr_workgroup_id_x 1
		.amdhsa_system_sgpr_workgroup_id_y 0
		.amdhsa_system_sgpr_workgroup_id_z 0
		.amdhsa_system_sgpr_workgroup_info 0
		.amdhsa_system_vgpr_workitem_id 0
		.amdhsa_next_free_vgpr 4
		.amdhsa_next_free_sgpr 12
		.amdhsa_reserve_vcc 1
		.amdhsa_reserve_flat_scratch 0
		.amdhsa_float_round_mode_32 0
		.amdhsa_float_round_mode_16_64 0
		.amdhsa_float_denorm_mode_32 3
		.amdhsa_float_denorm_mode_16_64 3
		.amdhsa_dx10_clamp 1
		.amdhsa_ieee_mode 1
		.amdhsa_fp16_overflow 0
		.amdhsa_workgroup_processor_mode 1
		.amdhsa_memory_ordered 1
		.amdhsa_forward_progress 1
		.amdhsa_shared_vgpr_count 0
		.amdhsa_exception_fp_ieee_invalid_op 0
		.amdhsa_exception_fp_denorm_src 0
		.amdhsa_exception_fp_ieee_div_zero 0
		.amdhsa_exception_fp_ieee_overflow 0
		.amdhsa_exception_fp_ieee_underflow 0
		.amdhsa_exception_fp_ieee_inexact 0
		.amdhsa_exception_int_div_zero 0
	.end_amdhsa_kernel
	.text
.Lfunc_end2:
	.size	_Z11reduce_wc64PxS_PfS0_, .Lfunc_end2-_Z11reduce_wc64PxS_PfS0_
                                        ; -- End function
	.set _Z11reduce_wc64PxS_PfS0_.num_vgpr, 4
	.set _Z11reduce_wc64PxS_PfS0_.num_agpr, 0
	.set _Z11reduce_wc64PxS_PfS0_.numbered_sgpr, 12
	.set _Z11reduce_wc64PxS_PfS0_.num_named_barrier, 0
	.set _Z11reduce_wc64PxS_PfS0_.private_seg_size, 0
	.set _Z11reduce_wc64PxS_PfS0_.uses_vcc, 1
	.set _Z11reduce_wc64PxS_PfS0_.uses_flat_scratch, 0
	.set _Z11reduce_wc64PxS_PfS0_.has_dyn_sized_stack, 0
	.set _Z11reduce_wc64PxS_PfS0_.has_recursion, 0
	.set _Z11reduce_wc64PxS_PfS0_.has_indirect_call, 0
	.section	.AMDGPU.csdata,"",@progbits
; Kernel info:
; codeLenInByte = 352
; TotalNumSgprs: 14
; NumVgprs: 4
; ScratchSize: 0
; MemoryBound: 0
; FloatMode: 240
; IeeeMode: 1
; LDSByteSize: 0 bytes/workgroup (compile time only)
; SGPRBlocks: 0
; VGPRBlocks: 0
; NumSGPRsForWavesPerEU: 14
; NumVGPRsForWavesPerEU: 4
; Occupancy: 16
; WaveLimiterHint : 0
; COMPUTE_PGM_RSRC2:SCRATCH_EN: 0
; COMPUTE_PGM_RSRC2:USER_SGPR: 6
; COMPUTE_PGM_RSRC2:TRAP_HANDLER: 0
; COMPUTE_PGM_RSRC2:TGID_X_EN: 1
; COMPUTE_PGM_RSRC2:TGID_Y_EN: 0
; COMPUTE_PGM_RSRC2:TGID_Z_EN: 0
; COMPUTE_PGM_RSRC2:TIDIG_COMP_CNT: 0
	.text
	.p2alignl 6, 3214868480
	.fill 48, 4, 3214868480
	.section	.AMDGPU.gpr_maximums,"",@progbits
	.set amdgpu.max_num_vgpr, 0
	.set amdgpu.max_num_agpr, 0
	.set amdgpu.max_num_sgpr, 0
	.text
	.type	__hip_cuid_215362280f710521,@object ; @__hip_cuid_215362280f710521
	.section	.bss,"aw",@nobits
	.globl	__hip_cuid_215362280f710521
__hip_cuid_215362280f710521:
	.byte	0                               ; 0x0
	.size	__hip_cuid_215362280f710521, 1

	.ident	"AMD clang version 22.0.0git (https://github.com/RadeonOpenCompute/llvm-project roc-7.2.4 26084 f58b06dce1f9c15707c5f808fd002e18c2accf7e)"
	.section	".note.GNU-stack","",@progbits
	.addrsig
	.addrsig_sym __hip_cuid_215362280f710521
	.amdgpu_metadata
---
amdhsa.kernels:
  - .args:
      - .address_space:  global
        .offset:         0
        .size:           8
        .value_kind:     global_buffer
      - .address_space:  global
        .offset:         8
        .size:           8
        .value_kind:     global_buffer
      - .address_space:  global
        .offset:         16
        .size:           8
        .value_kind:     global_buffer
      - .address_space:  global
        .offset:         24
        .size:           8
        .value_kind:     global_buffer
    .group_segment_fixed_size: 0
    .kernarg_segment_align: 8
    .kernarg_segment_size: 32
    .language:       OpenCL C
    .language_version:
      - 2
      - 0
    .max_flat_workgroup_size: 1024
    .name:           _Z10reduce_c64PxS_PfS0_
    .private_segment_fixed_size: 0
    .sgpr_count:     14
    .sgpr_spill_count: 0
    .symbol:         _Z10reduce_c64PxS_PfS0_.kd
    .uniform_work_group_size: 1
    .uses_dynamic_stack: false
    .vgpr_count:     4
    .vgpr_spill_count: 0
    .wavefront_size: 32
    .workgroup_processor_mode: 1
  - .args:
      - .address_space:  global
        .offset:         0
        .size:           8
        .value_kind:     global_buffer
      - .address_space:  global
        .offset:         8
        .size:           8
        .value_kind:     global_buffer
      - .address_space:  global
        .offset:         16
        .size:           8
        .value_kind:     global_buffer
      - .address_space:  global
        .offset:         24
        .size:           8
        .value_kind:     global_buffer
    .group_segment_fixed_size: 0
    .kernarg_segment_align: 8
    .kernarg_segment_size: 32
    .language:       OpenCL C
    .language_version:
      - 2
      - 0
    .max_flat_workgroup_size: 1024
    .name:           _Z8reduce_cPxS_PfS0_
    .private_segment_fixed_size: 0
    .sgpr_count:     14
    .sgpr_spill_count: 0
    .symbol:         _Z8reduce_cPxS_PfS0_.kd
    .uniform_work_group_size: 1
    .uses_dynamic_stack: false
    .vgpr_count:     4
    .vgpr_spill_count: 0
    .wavefront_size: 32
    .workgroup_processor_mode: 1
  - .args:
      - .address_space:  global
        .offset:         0
        .size:           8
        .value_kind:     global_buffer
      - .address_space:  global
        .offset:         8
        .size:           8
        .value_kind:     global_buffer
      - .address_space:  global
        .offset:         16
        .size:           8
        .value_kind:     global_buffer
      - .address_space:  global
        .offset:         24
        .size:           8
        .value_kind:     global_buffer
    .group_segment_fixed_size: 0
    .kernarg_segment_align: 8
    .kernarg_segment_size: 32
    .language:       OpenCL C
    .language_version:
      - 2
      - 0
    .max_flat_workgroup_size: 1024
    .name:           _Z11reduce_wc64PxS_PfS0_
    .private_segment_fixed_size: 0
    .sgpr_count:     14
    .sgpr_spill_count: 0
    .symbol:         _Z11reduce_wc64PxS_PfS0_.kd
    .uniform_work_group_size: 1
    .uses_dynamic_stack: false
    .vgpr_count:     4
    .vgpr_spill_count: 0
    .wavefront_size: 32
    .workgroup_processor_mode: 1
amdhsa.target:   amdgcn-amd-amdhsa--gfx1030
amdhsa.version:
  - 1
  - 2
...

	.end_amdgpu_metadata
